;; amdgpu-corpus repo=ROCm/rocFFT kind=compiled arch=gfx950 opt=O3
	.text
	.amdgcn_target "amdgcn-amd-amdhsa--gfx950"
	.amdhsa_code_object_version 6
	.protected	fft_rtc_fwd_len1664_factors_13_2_2_4_2_2_2_wgs_208_tpt_208_halfLds_sp_ip_CI_unitstride_sbrr_C2R_dirReg ; -- Begin function fft_rtc_fwd_len1664_factors_13_2_2_4_2_2_2_wgs_208_tpt_208_halfLds_sp_ip_CI_unitstride_sbrr_C2R_dirReg
	.globl	fft_rtc_fwd_len1664_factors_13_2_2_4_2_2_2_wgs_208_tpt_208_halfLds_sp_ip_CI_unitstride_sbrr_C2R_dirReg
	.p2align	8
	.type	fft_rtc_fwd_len1664_factors_13_2_2_4_2_2_2_wgs_208_tpt_208_halfLds_sp_ip_CI_unitstride_sbrr_C2R_dirReg,@function
fft_rtc_fwd_len1664_factors_13_2_2_4_2_2_2_wgs_208_tpt_208_halfLds_sp_ip_CI_unitstride_sbrr_C2R_dirReg: ; @fft_rtc_fwd_len1664_factors_13_2_2_4_2_2_2_wgs_208_tpt_208_halfLds_sp_ip_CI_unitstride_sbrr_C2R_dirReg
; %bb.0:
	s_load_dwordx2 s[8:9], s[0:1], 0x50
	s_load_dwordx4 s[4:7], s[0:1], 0x0
	s_load_dwordx2 s[10:11], s[0:1], 0x18
	v_mul_u32_u24_e32 v1, 0x13c, v0
	v_add_u32_sdwa v6, s2, v1 dst_sel:DWORD dst_unused:UNUSED_PAD src0_sel:DWORD src1_sel:WORD_1
	v_mov_b32_e32 v4, 0
	s_waitcnt lgkmcnt(0)
	v_cmp_lt_u64_e64 s[2:3], s[6:7], 2
	v_mov_b32_e32 v7, v4
	s_and_b64 vcc, exec, s[2:3]
	v_mov_b64_e32 v[2:3], 0
	s_cbranch_vccnz .LBB0_8
; %bb.1:
	s_load_dwordx2 s[2:3], s[0:1], 0x10
	s_add_u32 s12, s10, 8
	s_addc_u32 s13, s11, 0
	s_mov_b64 s[14:15], 1
	v_mov_b64_e32 v[2:3], 0
	s_waitcnt lgkmcnt(0)
	s_add_u32 s16, s2, 8
	s_addc_u32 s17, s3, 0
.LBB0_2:                                ; =>This Inner Loop Header: Depth=1
	s_load_dwordx2 s[18:19], s[16:17], 0x0
                                        ; implicit-def: $vgpr8_vgpr9
	s_waitcnt lgkmcnt(0)
	v_or_b32_e32 v5, s19, v7
	v_cmp_ne_u64_e32 vcc, 0, v[4:5]
	s_and_saveexec_b64 s[2:3], vcc
	s_xor_b64 s[20:21], exec, s[2:3]
	s_cbranch_execz .LBB0_4
; %bb.3:                                ;   in Loop: Header=BB0_2 Depth=1
	v_cvt_f32_u32_e32 v1, s18
	v_cvt_f32_u32_e32 v5, s19
	s_sub_u32 s2, 0, s18
	s_subb_u32 s3, 0, s19
	v_fmac_f32_e32 v1, 0x4f800000, v5
	v_rcp_f32_e32 v1, v1
	s_nop 0
	v_mul_f32_e32 v1, 0x5f7ffffc, v1
	v_mul_f32_e32 v5, 0x2f800000, v1
	v_trunc_f32_e32 v5, v5
	v_fmac_f32_e32 v1, 0xcf800000, v5
	v_cvt_u32_f32_e32 v5, v5
	v_cvt_u32_f32_e32 v1, v1
	v_mul_lo_u32 v8, s2, v5
	v_mul_hi_u32 v10, s2, v1
	v_mul_lo_u32 v9, s3, v1
	v_add_u32_e32 v10, v10, v8
	v_mul_lo_u32 v12, s2, v1
	v_add_u32_e32 v13, v10, v9
	v_mul_hi_u32 v8, v1, v12
	v_mul_hi_u32 v11, v1, v13
	v_mul_lo_u32 v10, v1, v13
	v_mov_b32_e32 v9, v4
	v_lshl_add_u64 v[8:9], v[8:9], 0, v[10:11]
	v_mul_hi_u32 v11, v5, v12
	v_mul_lo_u32 v12, v5, v12
	v_add_co_u32_e32 v8, vcc, v8, v12
	v_mul_hi_u32 v10, v5, v13
	s_nop 0
	v_addc_co_u32_e32 v8, vcc, v9, v11, vcc
	v_mov_b32_e32 v9, v4
	s_nop 0
	v_addc_co_u32_e32 v11, vcc, 0, v10, vcc
	v_mul_lo_u32 v10, v5, v13
	v_lshl_add_u64 v[8:9], v[8:9], 0, v[10:11]
	v_add_co_u32_e32 v1, vcc, v1, v8
	v_mul_lo_u32 v10, s2, v1
	s_nop 0
	v_addc_co_u32_e32 v5, vcc, v5, v9, vcc
	v_mul_lo_u32 v8, s2, v5
	v_mul_hi_u32 v9, s2, v1
	v_add_u32_e32 v8, v9, v8
	v_mul_lo_u32 v9, s3, v1
	v_add_u32_e32 v12, v8, v9
	v_mul_hi_u32 v14, v5, v10
	v_mul_lo_u32 v15, v5, v10
	v_mul_hi_u32 v9, v1, v12
	v_mul_lo_u32 v8, v1, v12
	v_mul_hi_u32 v10, v1, v10
	v_mov_b32_e32 v11, v4
	v_lshl_add_u64 v[8:9], v[10:11], 0, v[8:9]
	v_add_co_u32_e32 v8, vcc, v8, v15
	v_mul_hi_u32 v13, v5, v12
	s_nop 0
	v_addc_co_u32_e32 v8, vcc, v9, v14, vcc
	v_mul_lo_u32 v10, v5, v12
	s_nop 0
	v_addc_co_u32_e32 v11, vcc, 0, v13, vcc
	v_mov_b32_e32 v9, v4
	v_lshl_add_u64 v[8:9], v[8:9], 0, v[10:11]
	v_add_co_u32_e32 v1, vcc, v1, v8
	v_mul_hi_u32 v10, v6, v1
	s_nop 0
	v_addc_co_u32_e32 v5, vcc, v5, v9, vcc
	v_mad_u64_u32 v[8:9], s[2:3], v6, v5, 0
	v_mov_b32_e32 v11, v4
	v_lshl_add_u64 v[8:9], v[10:11], 0, v[8:9]
	v_mad_u64_u32 v[12:13], s[2:3], v7, v1, 0
	v_add_co_u32_e32 v1, vcc, v8, v12
	v_mad_u64_u32 v[10:11], s[2:3], v7, v5, 0
	s_nop 0
	v_addc_co_u32_e32 v8, vcc, v9, v13, vcc
	v_mov_b32_e32 v9, v4
	s_nop 0
	v_addc_co_u32_e32 v11, vcc, 0, v11, vcc
	v_lshl_add_u64 v[8:9], v[8:9], 0, v[10:11]
	v_mul_lo_u32 v1, s19, v8
	v_mul_lo_u32 v5, s18, v9
	v_mad_u64_u32 v[10:11], s[2:3], s18, v8, 0
	v_add3_u32 v1, v11, v5, v1
	v_sub_u32_e32 v5, v7, v1
	v_mov_b32_e32 v11, s19
	v_sub_co_u32_e32 v14, vcc, v6, v10
	v_lshl_add_u64 v[12:13], v[8:9], 0, 1
	s_nop 0
	v_subb_co_u32_e64 v5, s[2:3], v5, v11, vcc
	v_subrev_co_u32_e64 v10, s[2:3], s18, v14
	v_subb_co_u32_e32 v1, vcc, v7, v1, vcc
	s_nop 0
	v_subbrev_co_u32_e64 v5, s[2:3], 0, v5, s[2:3]
	v_cmp_le_u32_e64 s[2:3], s19, v5
	v_cmp_le_u32_e32 vcc, s19, v1
	s_nop 0
	v_cndmask_b32_e64 v11, 0, -1, s[2:3]
	v_cmp_le_u32_e64 s[2:3], s18, v10
	s_nop 1
	v_cndmask_b32_e64 v10, 0, -1, s[2:3]
	v_cmp_eq_u32_e64 s[2:3], s19, v5
	s_nop 1
	v_cndmask_b32_e64 v5, v11, v10, s[2:3]
	v_lshl_add_u64 v[10:11], v[8:9], 0, 2
	v_cmp_ne_u32_e64 s[2:3], 0, v5
	s_nop 1
	v_cndmask_b32_e64 v5, v13, v11, s[2:3]
	v_cndmask_b32_e64 v11, 0, -1, vcc
	v_cmp_le_u32_e32 vcc, s18, v14
	s_nop 1
	v_cndmask_b32_e64 v13, 0, -1, vcc
	v_cmp_eq_u32_e32 vcc, s19, v1
	s_nop 1
	v_cndmask_b32_e32 v1, v11, v13, vcc
	v_cmp_ne_u32_e32 vcc, 0, v1
	v_cndmask_b32_e64 v1, v12, v10, s[2:3]
	s_nop 0
	v_cndmask_b32_e32 v9, v9, v5, vcc
	v_cndmask_b32_e32 v8, v8, v1, vcc
.LBB0_4:                                ;   in Loop: Header=BB0_2 Depth=1
	s_andn2_saveexec_b64 s[2:3], s[20:21]
	s_cbranch_execz .LBB0_6
; %bb.5:                                ;   in Loop: Header=BB0_2 Depth=1
	v_cvt_f32_u32_e32 v1, s18
	s_sub_i32 s20, 0, s18
	v_rcp_iflag_f32_e32 v1, v1
	s_nop 0
	v_mul_f32_e32 v1, 0x4f7ffffe, v1
	v_cvt_u32_f32_e32 v1, v1
	v_mul_lo_u32 v5, s20, v1
	v_mul_hi_u32 v5, v1, v5
	v_add_u32_e32 v1, v1, v5
	v_mul_hi_u32 v1, v6, v1
	v_mul_lo_u32 v5, v1, s18
	v_sub_u32_e32 v5, v6, v5
	v_add_u32_e32 v8, 1, v1
	v_subrev_u32_e32 v9, s18, v5
	v_cmp_le_u32_e32 vcc, s18, v5
	s_nop 1
	v_cndmask_b32_e32 v5, v5, v9, vcc
	v_cndmask_b32_e32 v1, v1, v8, vcc
	v_add_u32_e32 v8, 1, v1
	v_cmp_le_u32_e32 vcc, s18, v5
	v_mov_b32_e32 v9, v4
	s_nop 0
	v_cndmask_b32_e32 v8, v1, v8, vcc
.LBB0_6:                                ;   in Loop: Header=BB0_2 Depth=1
	s_or_b64 exec, exec, s[2:3]
	v_mad_u64_u32 v[10:11], s[2:3], v8, s18, 0
	s_load_dwordx2 s[2:3], s[12:13], 0x0
	v_mul_lo_u32 v1, v9, s18
	v_mul_lo_u32 v5, v8, s19
	v_add3_u32 v1, v11, v5, v1
	v_sub_co_u32_e32 v5, vcc, v6, v10
	s_add_u32 s14, s14, 1
	s_nop 0
	v_subb_co_u32_e32 v1, vcc, v7, v1, vcc
	s_addc_u32 s15, s15, 0
	s_waitcnt lgkmcnt(0)
	v_mul_lo_u32 v1, s2, v1
	v_mul_lo_u32 v6, s3, v5
	v_mad_u64_u32 v[2:3], s[2:3], s2, v5, v[2:3]
	s_add_u32 s12, s12, 8
	v_add3_u32 v3, v6, v3, v1
	s_addc_u32 s13, s13, 0
	v_mov_b64_e32 v[6:7], s[6:7]
	s_add_u32 s16, s16, 8
	v_cmp_ge_u64_e32 vcc, s[14:15], v[6:7]
	s_addc_u32 s17, s17, 0
	s_cbranch_vccnz .LBB0_9
; %bb.7:                                ;   in Loop: Header=BB0_2 Depth=1
	v_mov_b64_e32 v[6:7], v[8:9]
	s_branch .LBB0_2
.LBB0_8:
	v_mov_b64_e32 v[8:9], v[6:7]
.LBB0_9:
	s_lshl_b64 s[2:3], s[6:7], 3
	s_add_u32 s2, s10, s2
	s_addc_u32 s3, s11, s3
	s_load_dwordx2 s[6:7], s[2:3], 0x0
	s_load_dwordx2 s[10:11], s[0:1], 0x20
	s_mov_b32 s2, 0x13b13b2
	v_mov_b32_e32 v33, 0
	s_waitcnt lgkmcnt(0)
	v_mul_lo_u32 v1, s6, v9
	v_mul_lo_u32 v4, s7, v8
	v_mad_u64_u32 v[2:3], s[0:1], s6, v8, v[2:3]
	v_add3_u32 v3, v4, v3, v1
	v_mul_hi_u32 v1, v0, s2
	v_mul_u32_u24_e32 v1, 0xd0, v1
	v_sub_u32_e32 v32, v0, v1
	v_cmp_gt_u64_e64 s[0:1], s[10:11], v[8:9]
	v_lshl_add_u64 v[24:25], v[2:3], 3, s[8:9]
	v_mov_b32_e32 v26, v32
	s_and_saveexec_b64 s[2:3], s[0:1]
	s_cbranch_execz .LBB0_13
; %bb.10:
	v_lshl_add_u64 v[0:1], v[32:33], 3, v[24:25]
	v_add_co_u32_e32 v2, vcc, 0x1000, v0
	s_movk_i32 s6, 0xcf
	s_nop 0
	v_addc_co_u32_e32 v3, vcc, 0, v1, vcc
	global_load_dwordx2 v[4:5], v[0:1], off
	global_load_dwordx2 v[6:7], v[0:1], off offset:1664
	global_load_dwordx2 v[8:9], v[0:1], off offset:3328
	global_load_dwordx2 v[10:11], v[2:3], off offset:896
	v_add_co_u32_e32 v0, vcc, 0x2000, v0
	s_nop 1
	v_addc_co_u32_e32 v1, vcc, 0, v1, vcc
	global_load_dwordx2 v[12:13], v[2:3], off offset:2560
	global_load_dwordx2 v[14:15], v[0:1], off offset:128
	;; [unrolled: 1-line block ×4, first 2 shown]
	v_lshl_add_u32 v0, v32, 3, 0
	v_add_u32_e32 v1, 0xc00, v0
	v_add_u32_e32 v2, 0x1a00, v0
	;; [unrolled: 1-line block ×3, first 2 shown]
	v_cmp_eq_u32_e32 vcc, s6, v32
	s_waitcnt vmcnt(6)
	ds_write2_b64 v0, v[4:5], v[6:7] offset1:208
	s_waitcnt vmcnt(4)
	ds_write2_b64 v1, v[8:9], v[10:11] offset0:32 offset1:240
	s_waitcnt vmcnt(2)
	ds_write2_b64 v2, v[12:13], v[14:15] offset1:208
	s_waitcnt vmcnt(0)
	ds_write2_b64 v3, v[16:17], v[18:19] offset0:32 offset1:240
	v_mov_b64_e32 v[0:1], v[32:33]
	s_and_saveexec_b64 s[6:7], vcc
	s_cbranch_execz .LBB0_12
; %bb.11:
	v_add_co_u32_e32 v0, vcc, 0x3000, v24
	v_mov_b32_e32 v2, 0
	s_nop 0
	v_addc_co_u32_e32 v1, vcc, 0, v25, vcc
	global_load_dwordx2 v[0:1], v[0:1], off offset:1024
	v_mov_b32_e32 v32, 0xcf
	s_waitcnt vmcnt(0)
	ds_write_b64 v2, v[0:1] offset:13312
	v_mov_b64_e32 v[0:1], 0xcf
.LBB0_12:
	s_or_b64 exec, exec, s[6:7]
	v_mov_b32_e32 v26, v32
	v_mov_b64_e32 v[32:33], v[0:1]
.LBB0_13:
	s_or_b64 exec, exec, s[2:3]
	v_lshlrev_b32_e32 v0, 3, v26
	v_add_u32_e32 v104, 0, v0
	s_waitcnt lgkmcnt(0)
	s_barrier
	v_sub_u32_e32 v2, 0, v0
	ds_read_b32 v1, v104
	ds_read_b32 v3, v2 offset:13312
	s_add_u32 s2, s4, 0x3398
	s_addc_u32 s3, s5, 0
	v_cmp_ne_u32_e32 vcc, 0, v26
	s_waitcnt lgkmcnt(0)
	v_add_f32_e32 v0, v3, v1
	v_sub_f32_e32 v1, v1, v3
	s_and_saveexec_b64 s[6:7], vcc
	s_xor_b64 s[6:7], exec, s[6:7]
	s_cbranch_execz .LBB0_15
; %bb.14:
	v_lshl_add_u64 v[4:5], v[32:33], 3, s[2:3]
	global_load_dwordx2 v[4:5], v[4:5], off
	ds_read_b32 v3, v2 offset:13316
	ds_read_b32 v9, v104 offset:4
	v_mov_b32_e32 v6, v1
	v_mov_b32_e32 v8, v0
	;; [unrolled: 1-line block ×3, first 2 shown]
	s_waitcnt lgkmcnt(0)
	v_add_f32_e32 v7, v3, v9
	v_sub_f32_e32 v9, v9, v3
	v_mov_b32_e32 v10, v7
	s_waitcnt vmcnt(0)
	v_pk_mul_f32 v[12:13], v[6:7], v[4:5] op_sel:[0,1]
	v_pk_fma_f32 v[6:7], v[6:7], v[4:5], v[8:9] op_sel:[0,1,0]
	v_mov_b32_e32 v1, v13
	v_mov_b32_e32 v13, v9
	v_pk_fma_f32 v[14:15], v[4:5], v[10:11], v[6:7] neg_lo:[1,0,0] neg_hi:[1,0,0]
	v_pk_fma_f32 v[6:7], v[4:5], v[10:11], v[6:7] op_sel_hi:[0,1,1]
	v_pk_add_f32 v[0:1], v[0:1], v[12:13] neg_lo:[0,1] neg_hi:[0,1]
	v_mov_b32_e32 v15, v7
	v_pk_fma_f32 v[0:1], v[4:5], v[10:11], v[0:1] op_sel_hi:[0,1,1]
	ds_write_b64 v2, v[0:1] offset:13312
	v_mov_b64_e32 v[0:1], v[14:15]
.LBB0_15:
	s_andn2_saveexec_b64 s[6:7], s[6:7]
	s_cbranch_execz .LBB0_17
; %bb.16:
	v_mov_b32_e32 v3, 0
	ds_read_b64 v[4:5], v3 offset:6656
	s_mov_b32 s8, 2.0
	s_mov_b32 s9, -2.0
	s_waitcnt lgkmcnt(0)
	v_pk_mul_f32 v[4:5], v[4:5], s[8:9]
	ds_write_b64 v3, v[4:5] offset:6656
.LBB0_17:
	s_or_b64 exec, exec, s[6:7]
	v_mov_b32_e32 v27, 0
	v_lshl_add_u64 v[4:5], v[26:27], 3, s[2:3]
	global_load_dwordx2 v[4:5], v[4:5], off offset:1664
	v_add_u32_e32 v28, 0x1a0, v26
	v_mov_b32_e32 v29, v27
	v_lshl_add_u64 v[6:7], v[28:29], 3, s[2:3]
	global_load_dwordx2 v[6:7], v[6:7], off
	v_add_u32_e32 v30, 0x270, v26
	v_mov_b32_e32 v31, v27
	v_lshl_add_u64 v[8:9], v[30:31], 3, s[2:3]
	global_load_dwordx2 v[8:9], v[8:9], off
	ds_write_b64 v104, v[0:1]
	ds_read_b64 v[0:1], v2 offset:11648
	ds_read_b64 v[10:11], v104 offset:1664
	v_lshl_add_u32 v105, v28, 3, 0
	v_lshl_add_u32 v106, v30, 3, 0
	s_movk_i32 s2, 0x80
	s_movk_i32 s33, 0x1a0
	s_waitcnt lgkmcnt(0)
	v_pk_add_f32 v[12:13], v[10:11], v[0:1]
	v_pk_add_f32 v[0:1], v[10:11], v[0:1] neg_lo:[0,1] neg_hi:[0,1]
	v_mov_b32_e32 v10, v13
	v_mov_b32_e32 v11, v0
	;; [unrolled: 1-line block ×3, first 2 shown]
	v_cmp_gt_u32_e32 vcc, s2, v26
	s_waitcnt vmcnt(2)
	v_pk_mul_f32 v[14:15], v[10:11], v[4:5] op_sel:[0,1]
	s_nop 0
	v_pk_add_f32 v[16:17], v[12:13], v[14:15] op_sel:[0,1] op_sel_hi:[1,0]
	v_mov_b32_e32 v13, v14
	v_mov_b32_e32 v0, v15
	v_pk_fma_f32 v[14:15], v[4:5], v[10:11], v[16:17] neg_lo:[1,0,0] neg_hi:[1,0,0]
	v_pk_fma_f32 v[16:17], v[4:5], v[10:11], v[16:17] op_sel_hi:[0,1,1]
	v_pk_add_f32 v[0:1], v[12:13], v[0:1] neg_lo:[0,1] neg_hi:[0,1]
	v_mov_b32_e32 v15, v17
	v_pk_fma_f32 v[0:1], v[4:5], v[10:11], v[0:1] op_sel_hi:[0,1,1]
	ds_write_b64 v104, v[14:15] offset:1664
	ds_write_b64 v2, v[0:1] offset:11648
	ds_read_b64 v[0:1], v2 offset:9984
	ds_read_b64 v[4:5], v105
	s_waitcnt lgkmcnt(0)
	v_pk_add_f32 v[10:11], v[4:5], v[0:1]
	v_pk_add_f32 v[0:1], v[4:5], v[0:1] neg_lo:[0,1] neg_hi:[0,1]
	v_mov_b32_e32 v4, v11
	v_mov_b32_e32 v5, v0
	;; [unrolled: 1-line block ×3, first 2 shown]
	s_waitcnt vmcnt(1)
	v_pk_mul_f32 v[12:13], v[4:5], v[6:7] op_sel:[0,1]
	s_nop 0
	v_pk_add_f32 v[14:15], v[10:11], v[12:13] op_sel:[0,1] op_sel_hi:[1,0]
	v_mov_b32_e32 v11, v12
	v_mov_b32_e32 v0, v13
	v_pk_fma_f32 v[12:13], v[6:7], v[4:5], v[14:15] neg_lo:[1,0,0] neg_hi:[1,0,0]
	v_pk_fma_f32 v[14:15], v[6:7], v[4:5], v[14:15] op_sel_hi:[0,1,1]
	v_pk_add_f32 v[0:1], v[10:11], v[0:1] neg_lo:[0,1] neg_hi:[0,1]
	v_mov_b32_e32 v13, v15
	v_pk_fma_f32 v[0:1], v[6:7], v[4:5], v[0:1] op_sel_hi:[0,1,1]
	ds_write_b64 v105, v[12:13]
	ds_write_b64 v2, v[0:1] offset:9984
	ds_read_b64 v[0:1], v2 offset:8320
	ds_read_b64 v[4:5], v106
	s_waitcnt lgkmcnt(0)
	v_pk_add_f32 v[6:7], v[4:5], v[0:1]
	v_pk_add_f32 v[0:1], v[4:5], v[0:1] neg_lo:[0,1] neg_hi:[0,1]
	v_mov_b32_e32 v4, v7
	v_mov_b32_e32 v5, v0
	;; [unrolled: 1-line block ×3, first 2 shown]
	s_waitcnt vmcnt(0)
	v_pk_mul_f32 v[10:11], v[4:5], v[8:9] op_sel:[0,1]
	s_nop 0
	v_pk_add_f32 v[12:13], v[6:7], v[10:11] op_sel:[0,1] op_sel_hi:[1,0]
	v_mov_b32_e32 v7, v10
	v_mov_b32_e32 v0, v11
	v_pk_fma_f32 v[10:11], v[8:9], v[4:5], v[12:13] neg_lo:[1,0,0] neg_hi:[1,0,0]
	v_pk_fma_f32 v[12:13], v[8:9], v[4:5], v[12:13] op_sel_hi:[0,1,1]
	v_pk_add_f32 v[0:1], v[6:7], v[0:1] neg_lo:[0,1] neg_hi:[0,1]
	v_mov_b32_e32 v11, v13
	v_pk_fma_f32 v[0:1], v[8:9], v[4:5], v[0:1] op_sel_hi:[0,1,1]
	ds_write_b64 v106, v[10:11]
	ds_write_b64 v2, v[0:1] offset:8320
	s_waitcnt lgkmcnt(0)
	s_barrier
	s_barrier
	ds_read2st64_b64 v[0:3], v104 offset1:2
	ds_read2st64_b64 v[20:23], v104 offset0:4 offset1:6
	ds_read2st64_b64 v[16:19], v104 offset0:8 offset1:10
	;; [unrolled: 1-line block ×5, first 2 shown]
	ds_read_b64 v[46:47], v104 offset:12288
	s_waitcnt lgkmcnt(0)
	s_barrier
	s_and_saveexec_b64 s[2:3], vcc
	s_cbranch_execz .LBB0_19
; %bb.18:
	v_pk_add_f32 v[48:49], v[2:3], v[46:47] neg_lo:[0,1] neg_hi:[0,1]
	v_pk_add_f32 v[44:45], v[46:47], v[2:3]
	v_pk_add_f32 v[2:3], v[0:1], v[2:3]
	v_mov_b32_e32 v72, v44
	v_pk_add_f32 v[2:3], v[2:3], v[20:21]
	v_mov_b32_e32 v73, v48
	v_pk_add_f32 v[2:3], v[2:3], v[22:23]
	s_mov_b32 s25, 0xbeedf032
	v_pk_add_f32 v[2:3], v[2:3], v[16:17]
	s_mov_b32 s24, 0x3f62ad3f
	v_pk_add_f32 v[2:3], v[2:3], v[18:19]
	v_mov_b32_e32 v44, v49
	v_pk_add_f32 v[2:3], v[2:3], v[12:13]
	s_mov_b32 s6, s25
	v_pk_add_f32 v[2:3], v[2:3], v[14:15]
	s_mov_b32 s7, s24
	v_pk_add_f32 v[2:3], v[2:3], v[8:9]
	v_pk_add_f32 v[50:51], v[20:21], v[6:7] neg_lo:[0,1] neg_hi:[0,1]
	v_pk_add_f32 v[2:3], v[2:3], v[10:11]
	v_pk_add_f32 v[42:43], v[6:7], v[20:21]
	;; [unrolled: 1-line block ×3, first 2 shown]
	v_pk_add_f32 v[52:53], v[22:23], v[4:5] neg_lo:[0,1] neg_hi:[0,1]
	v_pk_add_f32 v[2:3], v[2:3], v[6:7]
	v_pk_add_f32 v[40:41], v[4:5], v[22:23]
	;; [unrolled: 1-line block ×3, first 2 shown]
	v_pk_mul_f32 v[2:3], v[72:73], s[24:25]
	s_mov_b32 s30, 0x3f116cb1
	v_pk_fma_f32 v[6:7], v[44:45], s[6:7], v[2:3] neg_lo:[1,0,0] neg_hi:[1,0,0]
	v_pk_fma_f32 v[4:5], v[44:45], s[6:7], v[2:3]
	v_mov_b32_e32 v74, v42
	v_mov_b32_e32 v7, v5
	;; [unrolled: 1-line block ×3, first 2 shown]
	s_mov_b32 s31, 0xbf52af12
	v_pk_add_f32 v[54:55], v[16:17], v[10:11] neg_lo:[0,1] neg_hi:[0,1]
	v_pk_add_f32 v[38:39], v[10:11], v[16:17]
	v_pk_add_f32 v[10:11], v[0:1], v[6:7]
	v_pk_mul_f32 v[6:7], v[74:75], s[30:31]
	v_mov_b32_e32 v42, v51
	s_mov_b32 s8, s31
	s_mov_b32 s9, s30
	v_pk_add_f32 v[56:57], v[18:19], v[8:9] neg_lo:[0,1] neg_hi:[0,1]
	v_pk_add_f32 v[36:37], v[8:9], v[18:19]
	v_pk_add_f32 v[58:59], v[12:13], v[14:15] neg_lo:[0,1] neg_hi:[0,1]
	v_pk_add_f32 v[34:35], v[14:15], v[12:13]
	v_pk_fma_f32 v[12:13], v[42:43], s[8:9], v[6:7] neg_lo:[1,0,0] neg_hi:[1,0,0]
	v_pk_fma_f32 v[8:9], v[42:43], s[8:9], v[6:7]
	s_mov_b32 s38, 0x3df6dbef
	v_mov_b32_e32 v13, v9
	v_mov_b32_e32 v76, v40
	v_mov_b32_e32 v77, v52
	s_mov_b32 s39, 0xbf7e222b
	v_pk_add_f32 v[14:15], v[12:13], v[10:11]
	v_pk_mul_f32 v[10:11], v[76:77], s[38:39]
	v_mov_b32_e32 v40, v53
	s_mov_b32 s10, s39
	s_mov_b32 s11, s38
	v_pk_fma_f32 v[16:17], v[40:41], s[10:11], v[10:11] neg_lo:[1,0,0] neg_hi:[1,0,0]
	v_pk_fma_f32 v[12:13], v[40:41], s[10:11], v[10:11]
	s_mov_b32 s26, 0xbeb58ec6
	v_mov_b32_e32 v17, v13
	v_mov_b32_e32 v80, v38
	v_mov_b32_e32 v81, v54
	s_mov_b32 s27, 0xbf6f5d39
	v_pk_add_f32 v[18:19], v[16:17], v[14:15]
	v_pk_mul_f32 v[14:15], v[80:81], s[26:27]
	v_mov_b32_e32 v38, v55
	s_mov_b32 s12, s27
	s_mov_b32 s13, s26
	;; [unrolled: 12-line block ×4, first 2 shown]
	v_pk_fma_f32 v[50:51], v[34:35], s[16:17], v[22:23] neg_lo:[1,0,0] neg_hi:[1,0,0]
	v_pk_fma_f32 v[46:47], v[34:35], s[16:17], v[22:23]
	s_movk_i32 s18, 0x60
	v_mov_b32_e32 v51, v47
	v_pk_add_f32 v[48:49], v[50:51], v[48:49]
	v_mad_u32_u24 v107, v26, s18, v104
	v_pk_mul_f32 v[50:51], v[72:73], s[30:31]
	ds_write2_b64 v107, v[60:61], v[48:49] offset1:1
	v_pk_fma_f32 v[52:53], v[44:45], s[8:9], v[50:51] neg_lo:[1,0,0] neg_hi:[1,0,0]
	v_pk_fma_f32 v[48:49], v[44:45], s[8:9], v[50:51]
	v_pk_mul_f32 v[54:55], v[74:75], s[26:27]
	v_mov_b32_e32 v53, v49
	v_pk_add_f32 v[56:57], v[0:1], v[52:53]
	v_pk_fma_f32 v[58:59], v[42:43], s[12:13], v[54:55] neg_lo:[1,0,0] neg_hi:[1,0,0]
	v_pk_fma_f32 v[52:53], v[42:43], s[12:13], v[54:55]
	s_mov_b32 s43, 0x3f29c268
	v_mov_b32_e32 v59, v53
	v_pk_add_f32 v[60:61], v[58:59], v[56:57]
	v_pk_mul_f32 v[58:59], v[76:77], s[36:37]
	s_mov_b32 s42, s34
	v_pk_fma_f32 v[62:63], v[40:41], s[16:17], v[58:59] neg_lo:[1,0,0] neg_hi:[1,0,0]
	v_pk_fma_f32 v[56:57], v[40:41], s[16:17], v[58:59]
	s_mov_b32 s18, s43
	v_mov_b32_e32 v63, v57
	v_pk_add_f32 v[64:65], v[62:63], v[60:61]
	s_mov_b32 s19, s34
	v_pk_mul_f32 v[62:63], v[80:81], s[42:43]
	s_mov_b32 s41, 0x3f7e222b
	v_pk_fma_f32 v[66:67], v[38:39], s[18:19], v[62:63] neg_lo:[1,0,0] neg_hi:[1,0,0]
	v_pk_fma_f32 v[60:61], v[38:39], s[18:19], v[62:63]
	s_mov_b32 s40, s38
	v_mov_b32_e32 v67, v61
	v_pk_add_f32 v[68:69], v[66:67], v[64:65]
	s_mov_b32 s20, s41
	s_mov_b32 s21, s38
	v_pk_mul_f32 v[66:67], v[88:89], s[40:41]
	s_mov_b32 s25, 0x3eedf032
	v_pk_fma_f32 v[70:71], v[36:37], s[20:21], v[66:67] neg_lo:[1,0,0] neg_hi:[1,0,0]
	v_pk_fma_f32 v[64:65], v[36:37], s[20:21], v[66:67]
	s_mov_b32 s22, s25
	v_mov_b32_e32 v71, v65
	v_pk_add_f32 v[78:79], v[70:71], v[68:69]
	s_mov_b32 s23, s24
	v_pk_mul_f32 v[70:71], v[108:109], s[24:25]
	v_pk_mul_f32 v[86:87], v[74:75], s[36:37]
	v_pk_fma_f32 v[82:83], v[34:35], s[22:23], v[70:71] neg_lo:[1,0,0] neg_hi:[1,0,0]
	v_pk_fma_f32 v[68:69], v[34:35], s[22:23], v[70:71]
	v_pk_fma_f32 v[92:93], v[42:43], s[16:17], v[86:87] neg_lo:[1,0,0] neg_hi:[1,0,0]
	v_mov_b32_e32 v83, v69
	v_pk_add_f32 v[110:111], v[82:83], v[78:79]
	v_pk_mul_f32 v[82:83], v[72:73], s[38:39]
	s_mov_b32 s45, 0x3f6f5d39
	v_pk_fma_f32 v[84:85], v[44:45], s[10:11], v[82:83] neg_lo:[1,0,0] neg_hi:[1,0,0]
	v_pk_fma_f32 v[78:79], v[44:45], s[10:11], v[82:83]
	s_mov_b32 s44, s26
	v_mov_b32_e32 v85, v79
	v_pk_add_f32 v[90:91], v[0:1], v[84:85]
	v_pk_fma_f32 v[84:85], v[42:43], s[16:17], v[86:87]
	s_mov_b32 s28, s45
	v_mov_b32_e32 v93, v85
	v_pk_add_f32 v[94:95], v[92:93], v[90:91]
	s_mov_b32 s29, s26
	v_pk_mul_f32 v[92:93], v[76:77], s[44:45]
	v_pk_mul_f32 v[114:115], v[108:109], s[34:35]
	v_pk_fma_f32 v[96:97], v[40:41], s[28:29], v[92:93] neg_lo:[1,0,0] neg_hi:[1,0,0]
	v_pk_fma_f32 v[90:91], v[40:41], s[28:29], v[92:93]
	v_pk_fma_f32 v[116:117], v[34:35], s[14:15], v[114:115] neg_lo:[1,0,0] neg_hi:[1,0,0]
	v_mov_b32_e32 v97, v91
	v_pk_add_f32 v[98:99], v[96:97], v[94:95]
	v_pk_mul_f32 v[96:97], v[80:81], s[24:25]
	v_pk_mul_f32 v[118:119], v[74:75], s[42:43]
	v_pk_fma_f32 v[100:101], v[38:39], s[22:23], v[96:97] neg_lo:[1,0,0] neg_hi:[1,0,0]
	v_pk_fma_f32 v[94:95], v[38:39], s[22:23], v[96:97]
	v_pk_fma_f32 v[120:121], v[42:43], s[18:19], v[118:119] neg_lo:[1,0,0] neg_hi:[1,0,0]
	v_mov_b32_e32 v101, v95
	v_pk_add_f32 v[102:103], v[100:101], v[98:99]
	v_pk_mul_f32 v[100:101], v[88:89], s[30:31]
	v_pk_fma_f32 v[122:123], v[42:43], s[18:19], v[118:119]
	v_pk_fma_f32 v[112:113], v[36:37], s[8:9], v[100:101] neg_lo:[1,0,0] neg_hi:[1,0,0]
	v_pk_fma_f32 v[98:99], v[36:37], s[8:9], v[100:101]
	v_mov_b32_e32 v121, v123
	v_mov_b32_e32 v113, v99
	v_pk_add_f32 v[112:113], v[112:113], v[102:103]
	v_pk_fma_f32 v[102:103], v[34:35], s[14:15], v[114:115]
	s_mov_b32 s45, 0x3e750f2a
	v_mov_b32_e32 v117, v103
	v_pk_add_f32 v[112:113], v[116:117], v[112:113]
	ds_write2_b64 v107, v[110:111], v[112:113] offset0:2 offset1:3
	v_pk_mul_f32 v[110:111], v[72:73], s[26:27]
	s_mov_b32 s44, s36
	v_pk_fma_f32 v[112:113], v[44:45], s[12:13], v[110:111] neg_lo:[1,0,0] neg_hi:[1,0,0]
	v_pk_fma_f32 v[116:117], v[44:45], s[12:13], v[110:111]
	s_mov_b32 s47, 0x3f52af12
	v_mov_b32_e32 v113, v117
	v_pk_add_f32 v[112:113], v[0:1], v[112:113]
	s_mov_b32 s46, s30
	v_pk_add_f32 v[112:113], v[120:121], v[112:113]
	v_pk_mul_f32 v[120:121], v[76:77], s[24:25]
	s_mov_b32 s42, s47
	v_pk_fma_f32 v[124:125], v[40:41], s[22:23], v[120:121] neg_lo:[1,0,0] neg_hi:[1,0,0]
	v_pk_fma_f32 v[126:127], v[40:41], s[22:23], v[120:121]
	s_mov_b32 s43, s30
	v_mov_b32_e32 v125, v127
	v_pk_add_f32 v[112:113], v[124:125], v[112:113]
	v_pk_mul_f32 v[124:125], v[80:81], s[38:39]
	s_mov_b32 s38, s45
	v_pk_fma_f32 v[128:129], v[38:39], s[10:11], v[124:125] neg_lo:[1,0,0] neg_hi:[1,0,0]
	v_pk_fma_f32 v[130:131], v[38:39], s[10:11], v[124:125]
	s_mov_b32 s39, s36
	v_mov_b32_e32 v129, v131
	v_pk_add_f32 v[112:113], v[128:129], v[112:113]
	v_pk_mul_f32 v[128:129], v[88:89], s[44:45]
	v_pk_mul_f32 v[144:145], v[74:75], s[40:41]
	v_pk_fma_f32 v[132:133], v[36:37], s[38:39], v[128:129] neg_lo:[1,0,0] neg_hi:[1,0,0]
	v_pk_fma_f32 v[134:135], v[36:37], s[38:39], v[128:129]
	v_pk_fma_f32 v[146:147], v[42:43], s[20:21], v[144:145] neg_lo:[1,0,0] neg_hi:[1,0,0]
	v_mov_b32_e32 v133, v135
	v_pk_add_f32 v[112:113], v[132:133], v[112:113]
	v_pk_mul_f32 v[132:133], v[108:109], s[46:47]
	v_pk_fma_f32 v[148:149], v[42:43], s[20:21], v[144:145]
	v_pk_fma_f32 v[136:137], v[34:35], s[42:43], v[132:133] neg_lo:[1,0,0] neg_hi:[1,0,0]
	v_pk_fma_f32 v[138:139], v[34:35], s[42:43], v[132:133]
	v_mov_b32_e32 v147, v149
	v_mov_b32_e32 v137, v139
	v_pk_add_f32 v[112:113], v[136:137], v[112:113]
	v_pk_mul_f32 v[136:137], v[72:73], s[34:35]
	v_pk_mul_f32 v[72:73], v[72:73], s[36:37]
	v_pk_fma_f32 v[140:141], v[44:45], s[14:15], v[136:137] neg_lo:[1,0,0] neg_hi:[1,0,0]
	v_pk_fma_f32 v[142:143], v[44:45], s[14:15], v[136:137]
	v_pk_mul_f32 v[74:75], v[74:75], s[24:25]
	v_mov_b32_e32 v141, v143
	v_pk_add_f32 v[140:141], v[0:1], v[140:141]
	v_pk_fma_f32 v[166:167], v[42:43], s[22:23], v[74:75]
	v_pk_add_f32 v[140:141], v[146:147], v[140:141]
	v_pk_mul_f32 v[146:147], v[76:77], s[30:31]
	v_pk_mul_f32 v[76:77], v[76:77], s[34:35]
	v_pk_fma_f32 v[150:151], v[40:41], s[8:9], v[146:147] neg_lo:[1,0,0] neg_hi:[1,0,0]
	v_pk_fma_f32 v[152:153], v[40:41], s[8:9], v[146:147]
	v_pk_fma_f32 v[168:169], v[40:41], s[14:15], v[76:77]
	v_mov_b32_e32 v151, v153
	v_pk_add_f32 v[140:141], v[150:151], v[140:141]
	v_pk_mul_f32 v[150:151], v[80:81], s[44:45]
	v_pk_mul_f32 v[80:81], v[80:81], s[46:47]
	v_pk_fma_f32 v[154:155], v[38:39], s[38:39], v[150:151] neg_lo:[1,0,0] neg_hi:[1,0,0]
	v_pk_fma_f32 v[156:157], v[38:39], s[38:39], v[150:151]
	v_pk_fma_f32 v[170:171], v[38:39], s[42:43], v[80:81]
	v_mov_b32_e32 v155, v157
	;; [unrolled: 7-line block ×4, first 2 shown]
	v_pk_add_f32 v[140:141], v[162:163], v[140:141]
	ds_write2_b64 v107, v[112:113], v[140:141] offset0:4 offset1:5
	v_pk_fma_f32 v[112:113], v[44:45], s[16:17], v[72:73] neg_lo:[1,0,0] neg_hi:[1,0,0]
	v_pk_fma_f32 v[140:141], v[44:45], s[16:17], v[72:73]
	v_pk_fma_f32 v[162:163], v[42:43], s[22:23], v[74:75] neg_lo:[1,0,0] neg_hi:[1,0,0]
	v_mov_b32_e32 v113, v141
	v_pk_add_f32 v[112:113], v[0:1], v[112:113]
	v_mov_b32_e32 v163, v167
	v_pk_add_f32 v[112:113], v[162:163], v[112:113]
	v_pk_fma_f32 v[162:163], v[40:41], s[14:15], v[76:77] neg_lo:[1,0,0] neg_hi:[1,0,0]
	v_pk_fma_f32 v[72:73], v[44:45], s[16:17], v[72:73] neg_lo:[0,0,1] neg_hi:[0,0,1]
	v_mov_b32_e32 v163, v169
	v_pk_add_f32 v[112:113], v[162:163], v[112:113]
	v_pk_fma_f32 v[162:163], v[38:39], s[42:43], v[80:81] neg_lo:[1,0,0] neg_hi:[1,0,0]
	v_mov_b32_e32 v141, v73
	v_mov_b32_e32 v163, v171
	v_pk_fma_f32 v[72:73], v[42:43], s[22:23], v[74:75] neg_lo:[0,0,1] neg_hi:[0,0,1]
	v_pk_fma_f32 v[74:75], v[40:41], s[14:15], v[76:77] neg_lo:[0,0,1] neg_hi:[0,0,1]
	v_pk_add_f32 v[112:113], v[162:163], v[112:113]
	v_pk_fma_f32 v[162:163], v[36:37], s[12:13], v[88:89] neg_lo:[1,0,0] neg_hi:[1,0,0]
	v_mov_b32_e32 v169, v75
	v_pk_fma_f32 v[74:75], v[38:39], s[42:43], v[80:81] neg_lo:[0,0,1] neg_hi:[0,0,1]
	v_mov_b32_e32 v163, v173
	v_mov_b32_e32 v167, v73
	v_pk_add_f32 v[72:73], v[0:1], v[140:141]
	v_mov_b32_e32 v171, v75
	v_pk_fma_f32 v[74:75], v[36:37], s[12:13], v[88:89] neg_lo:[0,0,1] neg_hi:[0,0,1]
	v_pk_add_f32 v[112:113], v[162:163], v[112:113]
	v_pk_fma_f32 v[162:163], v[34:35], s[20:21], v[108:109] neg_lo:[1,0,0] neg_hi:[1,0,0]
	v_pk_add_f32 v[72:73], v[166:167], v[72:73]
	v_mov_b32_e32 v173, v75
	v_pk_fma_f32 v[74:75], v[34:35], s[20:21], v[108:109] neg_lo:[0,0,1] neg_hi:[0,0,1]
	v_mov_b32_e32 v163, v175
	v_pk_add_f32 v[72:73], v[168:169], v[72:73]
	v_mov_b32_e32 v175, v75
	v_pk_fma_f32 v[74:75], v[40:41], s[8:9], v[146:147] neg_lo:[0,0,1] neg_hi:[0,0,1]
	v_pk_add_f32 v[72:73], v[170:171], v[72:73]
	v_mov_b32_e32 v153, v75
	v_pk_fma_f32 v[74:75], v[38:39], s[38:39], v[150:151] neg_lo:[0,0,1] neg_hi:[0,0,1]
	;; [unrolled: 3-line block ×3, first 2 shown]
	v_pk_add_f32 v[112:113], v[162:163], v[112:113]
	v_pk_add_f32 v[72:73], v[174:175], v[72:73]
	v_mov_b32_e32 v161, v75
	v_pk_fma_f32 v[74:75], v[34:35], s[12:13], v[158:159] neg_lo:[0,0,1] neg_hi:[0,0,1]
	ds_write2_b64 v107, v[112:113], v[72:73] offset0:6 offset1:7
	v_pk_fma_f32 v[72:73], v[44:45], s[14:15], v[136:137] neg_lo:[0,0,1] neg_hi:[0,0,1]
	v_mov_b32_e32 v165, v75
	v_pk_fma_f32 v[74:75], v[44:45], s[12:13], v[110:111] neg_lo:[0,0,1] neg_hi:[0,0,1]
	v_mov_b32_e32 v143, v73
	;; [unrolled: 2-line block ×4, first 2 shown]
	v_pk_add_f32 v[72:73], v[0:1], v[142:143]
	v_mov_b32_e32 v123, v75
	v_pk_add_f32 v[74:75], v[0:1], v[116:117]
	v_pk_fma_f32 v[76:77], v[40:41], s[22:23], v[120:121] neg_lo:[0,0,1] neg_hi:[0,0,1]
	v_pk_add_f32 v[72:73], v[148:149], v[72:73]
	v_pk_add_f32 v[74:75], v[122:123], v[74:75]
	v_mov_b32_e32 v127, v77
	v_pk_fma_f32 v[76:77], v[38:39], s[10:11], v[124:125] neg_lo:[0,0,1] neg_hi:[0,0,1]
	v_pk_add_f32 v[72:73], v[152:153], v[72:73]
	v_pk_add_f32 v[74:75], v[126:127], v[74:75]
	v_mov_b32_e32 v131, v77
	;; [unrolled: 4-line block ×4, first 2 shown]
	v_pk_add_f32 v[72:73], v[164:165], v[72:73]
	v_pk_add_f32 v[74:75], v[138:139], v[74:75]
	ds_write2_b64 v107, v[72:73], v[74:75] offset0:8 offset1:9
	v_pk_fma_f32 v[72:73], v[44:45], s[10:11], v[82:83] neg_lo:[0,0,1] neg_hi:[0,0,1]
	v_pk_fma_f32 v[50:51], v[44:45], s[8:9], v[50:51] neg_lo:[0,0,1] neg_hi:[0,0,1]
	;; [unrolled: 1-line block ×3, first 2 shown]
	v_mov_b32_e32 v79, v73
	v_pk_fma_f32 v[72:73], v[42:43], s[16:17], v[86:87] neg_lo:[0,0,1] neg_hi:[0,0,1]
	v_mov_b32_e32 v49, v51
	v_pk_fma_f32 v[50:51], v[42:43], s[12:13], v[54:55] neg_lo:[0,0,1] neg_hi:[0,0,1]
	;; [unrolled: 2-line block ×3, first 2 shown]
	v_mov_b32_e32 v85, v73
	v_pk_add_f32 v[72:73], v[0:1], v[78:79]
	v_pk_fma_f32 v[74:75], v[40:41], s[28:29], v[92:93] neg_lo:[0,0,1] neg_hi:[0,0,1]
	v_mov_b32_e32 v53, v51
	v_pk_add_f32 v[48:49], v[0:1], v[48:49]
	v_pk_fma_f32 v[50:51], v[40:41], s[16:17], v[58:59] neg_lo:[0,0,1] neg_hi:[0,0,1]
	v_pk_add_f32 v[0:1], v[0:1], v[4:5]
	v_mov_b32_e32 v9, v3
	v_pk_fma_f32 v[2:3], v[40:41], s[10:11], v[10:11] neg_lo:[0,0,1] neg_hi:[0,0,1]
	v_pk_add_f32 v[72:73], v[84:85], v[72:73]
	v_mov_b32_e32 v91, v75
	;; [unrolled: 3-line block ×11, first 2 shown]
	v_pk_add_f32 v[48:49], v[64:65], v[48:49]
	v_mov_b32_e32 v69, v51
	v_pk_add_f32 v[0:1], v[20:21], v[0:1]
	v_mov_b32_e32 v47, v3
	v_pk_add_f32 v[72:73], v[102:103], v[72:73]
	v_pk_add_f32 v[48:49], v[68:69], v[48:49]
	;; [unrolled: 1-line block ×3, first 2 shown]
	ds_write2_b64 v107, v[72:73], v[48:49] offset0:10 offset1:11
	ds_write_b64 v107, v[0:1] offset:96
.LBB0_19:
	s_or_b64 exec, exec, s[2:3]
	s_movk_i32 s2, 0x4f
	v_mul_lo_u16_sdwa v47, v26, s2 dst_sel:DWORD dst_unused:UNUSED_PAD src0_sel:BYTE_0 src1_sel:DWORD
	s_movk_i32 s2, 0x4ec5
	v_add_u32_e32 v46, 0xd0, v26
	v_mul_u32_u24_sdwa v50, v30, s2 dst_sel:DWORD dst_unused:UNUSED_PAD src0_sel:WORD_0 src1_sel:DWORD
	v_mul_u32_u24_sdwa v48, v46, s2 dst_sel:DWORD dst_unused:UNUSED_PAD src0_sel:WORD_0 src1_sel:DWORD
	;; [unrolled: 1-line block ×3, first 2 shown]
	v_lshrrev_b32_e32 v39, 18, v50
	v_lshrrev_b16_e32 v36, 10, v47
	v_lshrrev_b32_e32 v37, 18, v48
	v_lshrrev_b32_e32 v38, 18, v49
	v_mul_lo_u16_e32 v3, 13, v39
	v_mul_lo_u16_e32 v0, 13, v36
	;; [unrolled: 1-line block ×4, first 2 shown]
	v_sub_u16_e32 v3, v30, v3
	v_sub_u16_e32 v0, v26, v0
	;; [unrolled: 1-line block ×4, first 2 shown]
	v_mov_b32_e32 v51, 3
	v_lshlrev_b32_e32 v43, 3, v3
	s_waitcnt lgkmcnt(0)
	s_barrier
	v_lshlrev_b32_sdwa v40, v51, v0 dst_sel:DWORD dst_unused:UNUSED_PAD src0_sel:DWORD src1_sel:BYTE_0
	v_lshlrev_b32_e32 v41, 3, v1
	v_lshlrev_b32_e32 v42, 3, v2
	global_load_dwordx2 v[14:15], v43, s[4:5]
	global_load_dwordx2 v[16:17], v42, s[4:5]
	;; [unrolled: 1-line block ×4, first 2 shown]
	v_add_u32_e32 v0, 0x1a00, v104
	v_add_u32_e32 v1, 0x2600, v104
	ds_read_b64 v[22:23], v106
	ds_read_b64 v[34:35], v105
	ds_read2_b64 v[2:5], v104 offset1:208
	ds_read2_b64 v[6:9], v0 offset1:208
	ds_read2_b64 v[10:13], v1 offset0:32 offset1:240
	s_mov_b32 s3, 0x5040100
	s_movk_i32 s2, 0xd0
	v_lshrrev_b16_e32 v52, 11, v47
	v_perm_b32 v38, v39, v38, s3
	v_mul_lo_u16_e32 v39, 26, v52
	v_pk_mul_lo_u16 v38, v38, s2 op_sel_hi:[1,0]
	v_lshrrev_b32_e32 v53, 19, v48
	v_mul_u32_u24_e32 v36, 0xd0, v36
	v_mul_u32_u24_e32 v37, 0xd0, v37
	v_sub_u16_e32 v56, v26, v39
	v_and_b32_e32 v39, 0xfff0, v38
	v_lshrrev_b32_e32 v38, 16, v38
	v_mul_lo_u16_e32 v44, 26, v53
	v_add3_u32 v58, 0, v36, v40
	v_add3_u32 v59, 0, v37, v41
	v_add3_u32 v60, 0, v39, v42
	v_add3_u32 v61, 0, v38, v43
	v_sub_u16_e32 v57, v46, v44
	s_waitcnt lgkmcnt(0)
	s_barrier
	v_lshrrev_b32_e32 v54, 19, v49
	v_mul_lo_u16_e32 v55, 26, v54
	v_lshrrev_b32_e32 v48, 20, v48
	v_lshrrev_b16_e32 v47, 12, v47
	v_lshl_add_u64 v[32:33], v[32:33], 3, s[4:5]
	s_movk_i32 s2, 0x1000
	s_waitcnt vmcnt(3)
	v_pk_mul_f32 v[36:37], v[14:15], v[12:13] op_sel:[0,1]
	s_waitcnt vmcnt(2)
	v_pk_mul_f32 v[38:39], v[16:17], v[10:11] op_sel:[0,1]
	;; [unrolled: 2-line block ×4, first 2 shown]
	v_pk_fma_f32 v[44:45], v[14:15], v[12:13], v[36:37] op_sel:[0,0,1] op_sel_hi:[1,1,0] neg_lo:[0,0,1] neg_hi:[0,0,1]
	v_pk_fma_f32 v[12:13], v[14:15], v[12:13], v[36:37] op_sel:[0,0,1] op_sel_hi:[1,0,0]
	v_pk_fma_f32 v[14:15], v[16:17], v[10:11], v[38:39] op_sel:[0,0,1] op_sel_hi:[1,1,0] neg_lo:[0,0,1] neg_hi:[0,0,1]
	v_pk_fma_f32 v[10:11], v[16:17], v[10:11], v[38:39] op_sel:[0,0,1] op_sel_hi:[1,0,0]
	;; [unrolled: 2-line block ×4, first 2 shown]
	v_mov_b32_e32 v45, v13
	v_mov_b32_e32 v19, v7
	;; [unrolled: 1-line block ×4, first 2 shown]
	v_pk_add_f32 v[12:13], v[2:3], v[18:19] neg_lo:[0,1] neg_hi:[0,1]
	v_pk_add_f32 v[6:7], v[22:23], v[44:45] neg_lo:[0,1] neg_hi:[0,1]
	;; [unrolled: 1-line block ×4, first 2 shown]
	v_pk_fma_f32 v[2:3], v[2:3], 2.0, v[12:13] op_sel_hi:[1,0,1] neg_lo:[0,0,1] neg_hi:[0,0,1]
	v_pk_fma_f32 v[14:15], v[22:23], 2.0, v[6:7] op_sel_hi:[1,0,1] neg_lo:[0,0,1] neg_hi:[0,0,1]
	;; [unrolled: 1-line block ×4, first 2 shown]
	ds_write2_b64 v58, v[2:3], v[12:13] offset1:13
	ds_write2_b64 v59, v[4:5], v[10:11] offset1:13
	;; [unrolled: 1-line block ×4, first 2 shown]
	v_lshrrev_b32_e32 v3, 19, v50
	v_mul_lo_u16_e32 v4, 26, v3
	v_sub_u16_e32 v4, v30, v4
	v_sub_u16_e32 v2, v28, v55
	v_lshlrev_b32_e32 v4, 3, v4
	s_waitcnt lgkmcnt(0)
	s_barrier
	v_lshlrev_b32_sdwa v5, v51, v56 dst_sel:DWORD dst_unused:UNUSED_PAD src0_sel:DWORD src1_sel:BYTE_0
	v_lshlrev_b32_e32 v6, 3, v57
	v_lshlrev_b32_e32 v2, 3, v2
	global_load_dwordx2 v[14:15], v4, s[4:5] offset:104
	global_load_dwordx2 v[16:17], v2, s[4:5] offset:104
	;; [unrolled: 1-line block ×4, first 2 shown]
	v_perm_b32 v3, v3, v54, s3
	v_mul_lo_u16_e32 v10, 52, v48
	v_mul_lo_u16_e32 v9, 52, v47
	v_pk_mul_lo_u16 v3, v3, s33 op_sel_hi:[1,0]
	v_sub_u16_e32 v46, v46, v10
	v_mul_u32_u24_e32 v7, 0x1a0, v52
	v_mul_u32_u24_e32 v8, 0x1a0, v53
	v_sub_u16_e32 v52, v26, v9
	v_and_b32_e32 v9, 0xffe0, v3
	v_lshrrev_b32_e32 v3, 16, v3
	v_mul_u32_u24_e32 v10, 3, v46
	v_add3_u32 v53, 0, v7, v5
	v_add3_u32 v54, 0, v8, v6
	;; [unrolled: 1-line block ×4, first 2 shown]
	v_lshlrev_b32_e32 v57, 3, v10
	ds_read2_b64 v[2:5], v0 offset1:208
	ds_read2_b64 v[6:9], v1 offset0:32 offset1:240
	ds_read_b64 v[22:23], v106
	ds_read_b64 v[34:35], v105
	ds_read2_b64 v[10:13], v104 offset1:208
	s_waitcnt lgkmcnt(0)
	s_barrier
	s_movk_i32 s3, 0x2000
	s_waitcnt vmcnt(3)
	v_pk_mul_f32 v[36:37], v[14:15], v[8:9] op_sel:[0,1]
	s_waitcnt vmcnt(2)
	v_pk_mul_f32 v[38:39], v[16:17], v[6:7] op_sel:[0,1]
	;; [unrolled: 2-line block ×4, first 2 shown]
	v_pk_fma_f32 v[44:45], v[14:15], v[8:9], v[36:37] op_sel:[0,0,1] op_sel_hi:[1,1,0] neg_lo:[0,0,1] neg_hi:[0,0,1]
	v_pk_fma_f32 v[8:9], v[14:15], v[8:9], v[36:37] op_sel:[0,0,1] op_sel_hi:[1,0,0]
	v_pk_fma_f32 v[14:15], v[16:17], v[6:7], v[38:39] op_sel:[0,0,1] op_sel_hi:[1,1,0] neg_lo:[0,0,1] neg_hi:[0,0,1]
	v_pk_fma_f32 v[6:7], v[16:17], v[6:7], v[38:39] op_sel:[0,0,1] op_sel_hi:[1,0,0]
	v_pk_fma_f32 v[16:17], v[18:19], v[4:5], v[40:41] op_sel:[0,0,1] op_sel_hi:[1,1,0] neg_lo:[0,0,1] neg_hi:[0,0,1]
	v_pk_fma_f32 v[4:5], v[18:19], v[4:5], v[40:41] op_sel:[0,0,1] op_sel_hi:[1,0,0]
	v_pk_fma_f32 v[18:19], v[20:21], v[2:3], v[42:43] op_sel:[0,0,1] op_sel_hi:[1,1,0] neg_lo:[0,0,1] neg_hi:[0,0,1]
	v_pk_fma_f32 v[2:3], v[20:21], v[2:3], v[42:43] op_sel:[0,0,1] op_sel_hi:[1,0,0]
	v_mov_b32_e32 v45, v9
	v_mov_b32_e32 v19, v3
	v_mov_b32_e32 v15, v7
	v_mov_b32_e32 v17, v5
	v_pk_add_f32 v[8:9], v[10:11], v[18:19] neg_lo:[0,1] neg_hi:[0,1]
	v_pk_add_f32 v[2:3], v[22:23], v[44:45] neg_lo:[0,1] neg_hi:[0,1]
	v_pk_add_f32 v[4:5], v[34:35], v[14:15] neg_lo:[0,1] neg_hi:[0,1]
	v_pk_add_f32 v[6:7], v[12:13], v[16:17] neg_lo:[0,1] neg_hi:[0,1]
	v_pk_fma_f32 v[10:11], v[10:11], 2.0, v[8:9] op_sel_hi:[1,0,1] neg_lo:[0,0,1] neg_hi:[0,0,1]
	v_pk_fma_f32 v[14:15], v[22:23], 2.0, v[2:3] op_sel_hi:[1,0,1] neg_lo:[0,0,1] neg_hi:[0,0,1]
	;; [unrolled: 1-line block ×4, first 2 shown]
	ds_write2_b64 v53, v[10:11], v[8:9] offset1:26
	ds_write2_b64 v54, v[12:13], v[6:7] offset1:26
	;; [unrolled: 1-line block ×4, first 2 shown]
	v_mul_u32_u24_sdwa v6, v52, v51 dst_sel:DWORD dst_unused:UNUSED_PAD src0_sel:BYTE_0 src1_sel:DWORD
	v_lshlrev_b32_e32 v10, 3, v6
	s_waitcnt lgkmcnt(0)
	s_barrier
	global_load_dwordx2 v[22:23], v57, s[4:5] offset:328
	global_load_dwordx4 v[2:5], v57, s[4:5] offset:312
	global_load_dwordx4 v[6:9], v10, s[4:5] offset:312
	global_load_dwordx2 v[34:35], v10, s[4:5] offset:328
	v_lshrrev_b32_e32 v11, 22, v49
	v_lshrrev_b32_e32 v12, 22, v50
	v_mul_lo_u16_e32 v11, 0xd0, v11
	v_mul_lo_u16_e32 v12, 0xd0, v12
	v_add_u32_e32 v10, 0x1300, v104
	v_add_u32_e32 v14, 0x2000, v104
	;; [unrolled: 1-line block ×3, first 2 shown]
	v_mul_u32_u24_e32 v13, 0x680, v47
	v_mul_u32_u24_e32 v15, 0x680, v48
	v_sub_u16_e32 v11, v28, v11
	v_sub_u16_e32 v54, v30, v12
	v_lshlrev_b32_sdwa v12, v51, v52 dst_sel:DWORD dst_unused:UNUSED_PAD src0_sel:DWORD src1_sel:BYTE_0
	v_lshlrev_b32_e32 v16, 3, v46
	v_lshlrev_b32_e32 v55, 3, v11
	v_add3_u32 v56, 0, v13, v12
	v_add3_u32 v57, 0, v15, v16
	ds_read_b64 v[36:37], v105
	ds_read2_b64 v[10:13], v10 offset0:16 offset1:224
	ds_read2_b64 v[14:17], v14 offset0:16 offset1:224
	ds_read2_b32 v[38:39], v18 offset0:96 offset1:97
	ds_read2_b64 v[18:21], v104 offset1:208
	s_waitcnt lgkmcnt(0)
	s_barrier
	v_mov_b32_e32 v40, v39
	s_waitcnt vmcnt(3)
	v_pk_mul_f32 v[40:41], v[40:41], v[22:23] op_sel_hi:[0,1]
	s_waitcnt vmcnt(2)
	v_pk_mul_f32 v[42:43], v[2:3], v[10:11] op_sel:[0,1]
	v_pk_mul_f32 v[44:45], v[4:5], v[14:15] op_sel:[0,1]
	s_waitcnt vmcnt(1)
	v_pk_mul_f32 v[46:47], v[6:7], v[36:37] op_sel:[0,1]
	v_pk_mul_f32 v[48:49], v[8:9], v[12:13] op_sel:[0,1]
	s_waitcnt vmcnt(0)
	v_pk_mul_f32 v[50:51], v[34:35], v[16:17] op_sel:[0,1]
	v_pk_fma_f32 v[52:53], v[2:3], v[10:11], v[42:43] op_sel:[0,0,1] op_sel_hi:[1,1,0] neg_lo:[0,0,1] neg_hi:[0,0,1]
	v_pk_fma_f32 v[2:3], v[2:3], v[10:11], v[42:43] op_sel:[0,0,1] op_sel_hi:[1,0,0]
	v_pk_fma_f32 v[10:11], v[4:5], v[14:15], v[44:45] op_sel:[0,0,1] op_sel_hi:[1,1,0] neg_lo:[0,0,1] neg_hi:[0,0,1]
	v_pk_fma_f32 v[4:5], v[4:5], v[14:15], v[44:45] op_sel:[0,0,1] op_sel_hi:[1,0,0]
	;; [unrolled: 2-line block ×6, first 2 shown]
	v_mov_b32_e32 v53, v3
	v_mov_b32_e32 v11, v5
	v_mov_b32_e32 v15, v23
	v_mov_b32_e32 v39, v7
	v_mov_b32_e32 v37, v9
	v_mov_b32_e32 v13, v17
	v_pk_add_f32 v[2:3], v[20:21], v[10:11] neg_lo:[0,1] neg_hi:[0,1]
	v_pk_add_f32 v[4:5], v[52:53], v[14:15] neg_lo:[0,1] neg_hi:[0,1]
	;; [unrolled: 1-line block ×4, first 2 shown]
	v_pk_fma_f32 v[10:11], v[20:21], 2.0, v[2:3] op_sel_hi:[1,0,1] neg_lo:[0,0,1] neg_hi:[0,0,1]
	v_pk_fma_f32 v[12:13], v[52:53], 2.0, v[4:5] op_sel_hi:[1,0,1] neg_lo:[0,0,1] neg_hi:[0,0,1]
	;; [unrolled: 1-line block ×4, first 2 shown]
	v_pk_add_f32 v[18:19], v[6:7], v[8:9] op_sel:[0,1] op_sel_hi:[1,0] neg_lo:[0,1] neg_hi:[0,1]
	v_pk_add_f32 v[8:9], v[6:7], v[8:9] op_sel:[0,1] op_sel_hi:[1,0]
	v_pk_add_f32 v[20:21], v[2:3], v[4:5] op_sel:[0,1] op_sel_hi:[1,0] neg_lo:[0,1] neg_hi:[0,1]
	v_pk_add_f32 v[4:5], v[2:3], v[4:5] op_sel:[0,1] op_sel_hi:[1,0]
	v_pk_add_f32 v[16:17], v[14:15], v[16:17] neg_lo:[0,1] neg_hi:[0,1]
	v_mov_b32_e32 v19, v9
	v_mov_b32_e32 v21, v5
	v_pk_add_f32 v[12:13], v[10:11], v[12:13] neg_lo:[0,1] neg_hi:[0,1]
	v_pk_fma_f32 v[8:9], v[14:15], 2.0, v[16:17] op_sel_hi:[1,0,1] neg_lo:[0,0,1] neg_hi:[0,0,1]
	v_pk_fma_f32 v[6:7], v[6:7], 2.0, v[18:19] op_sel_hi:[1,0,1] neg_lo:[0,0,1] neg_hi:[0,0,1]
	;; [unrolled: 1-line block ×4, first 2 shown]
	ds_write2_b64 v56, v[16:17], v[18:19] offset0:104 offset1:156
	ds_write2_b64 v56, v[8:9], v[6:7] offset1:52
	ds_write2_b64 v57, v[4:5], v[2:3] offset1:52
	ds_write2_b64 v57, v[12:13], v[20:21] offset0:104 offset1:156
	v_lshlrev_b32_e32 v2, 3, v54
	s_waitcnt lgkmcnt(0)
	s_barrier
	global_load_dwordx2 v[14:15], v[32:33], off offset:1560
	global_load_dwordx2 v[16:17], v2, s[4:5] offset:1560
	global_load_dwordx2 v[18:19], v55, s[4:5] offset:1560
	v_add_u32_e32 v3, 0, v55
	v_add_u32_e32 v2, 0, v2
	v_lshl_add_u64 v[20:21], v[26:27], 3, s[4:5]
	v_add_u32_e32 v27, 0x1a00, v3
	v_add_u32_e32 v49, 0x2600, v2
	ds_read2_b64 v[2:5], v0 offset1:208
	ds_read2_b64 v[6:9], v1 offset0:32 offset1:240
	ds_read2_b64 v[10:13], v104 offset1:208
	ds_read_b64 v[34:35], v106
	ds_read_b64 v[36:37], v105
	v_add_co_u32_e32 v22, vcc, s2, v20
	v_add_u32_e32 v48, 0xc00, v104
	s_nop 0
	v_addc_co_u32_e32 v23, vcc, 0, v21, vcc
	s_waitcnt lgkmcnt(0)
	s_barrier
	s_waitcnt vmcnt(2)
	v_pk_mul_f32 v[38:39], v[14:15], v[2:3] op_sel:[0,1]
	v_pk_mul_f32 v[40:41], v[14:15], v[4:5] op_sel:[0,1]
	s_waitcnt vmcnt(1)
	v_pk_mul_f32 v[42:43], v[16:17], v[8:9] op_sel:[0,1]
	s_waitcnt vmcnt(0)
	v_pk_mul_f32 v[44:45], v[18:19], v[6:7] op_sel:[0,1]
	v_pk_fma_f32 v[46:47], v[14:15], v[2:3], v[38:39] op_sel:[0,0,1] op_sel_hi:[1,1,0] neg_lo:[0,0,1] neg_hi:[0,0,1]
	v_pk_fma_f32 v[2:3], v[14:15], v[2:3], v[38:39] op_sel:[0,0,1] op_sel_hi:[1,0,0]
	v_pk_fma_f32 v[38:39], v[14:15], v[4:5], v[40:41] op_sel:[0,0,1] op_sel_hi:[1,1,0] neg_lo:[0,0,1] neg_hi:[0,0,1]
	v_pk_fma_f32 v[4:5], v[14:15], v[4:5], v[40:41] op_sel:[0,0,1] op_sel_hi:[1,0,0]
	;; [unrolled: 2-line block ×4, first 2 shown]
	v_mov_b32_e32 v47, v3
	v_mov_b32_e32 v15, v9
	;; [unrolled: 1-line block ×4, first 2 shown]
	v_pk_add_f32 v[2:3], v[10:11], v[46:47] neg_lo:[0,1] neg_hi:[0,1]
	v_pk_add_f32 v[6:7], v[34:35], v[14:15] neg_lo:[0,1] neg_hi:[0,1]
	;; [unrolled: 1-line block ×4, first 2 shown]
	v_pk_fma_f32 v[10:11], v[10:11], 2.0, v[2:3] op_sel_hi:[1,0,1] neg_lo:[0,0,1] neg_hi:[0,0,1]
	v_pk_fma_f32 v[14:15], v[34:35], 2.0, v[6:7] op_sel_hi:[1,0,1] neg_lo:[0,0,1] neg_hi:[0,0,1]
	;; [unrolled: 1-line block ×4, first 2 shown]
	ds_write2_b64 v104, v[10:11], v[2:3] offset1:208
	ds_write2_b64 v48, v[12:13], v[4:5] offset0:32 offset1:240
	ds_write2_b64 v27, v[16:17], v[8:9] offset1:208
	ds_write2_b64 v49, v[14:15], v[6:7] offset0:32 offset1:240
	s_waitcnt lgkmcnt(0)
	s_barrier
	global_load_dwordx2 v[14:15], v[32:33], off offset:3224
	global_load_dwordx2 v[16:17], v[22:23], off offset:792
	v_add_co_u32_e32 v18, vcc, s2, v32
	v_lshl_add_u64 v[2:3], v[28:29], 3, s[4:5]
	s_nop 0
	v_addc_co_u32_e32 v19, vcc, 0, v33, vcc
	v_add_co_u32_e32 v20, vcc, s3, v20
	v_lshl_add_u64 v[4:5], v[30:31], 3, s[4:5]
	s_nop 0
	v_addc_co_u32_e32 v21, vcc, 0, v21, vcc
	v_add_co_u32_e32 v22, vcc, s2, v2
	s_nop 1
	v_addc_co_u32_e32 v23, vcc, 0, v3, vcc
	v_add_co_u32_e32 v28, vcc, s2, v4
	s_nop 1
	v_addc_co_u32_e32 v29, vcc, 0, v5, vcc
	ds_read2_b64 v[2:5], v0 offset1:208
	ds_read2_b64 v[6:9], v1 offset0:32 offset1:240
	ds_read2_b64 v[10:13], v104 offset1:208
	ds_read_b64 v[30:31], v105
	ds_read_b64 v[32:33], v106
	s_waitcnt lgkmcnt(0)
	s_barrier
	s_waitcnt vmcnt(1)
	v_pk_mul_f32 v[34:35], v[14:15], v[2:3] op_sel:[0,1]
	s_waitcnt vmcnt(0)
	v_pk_mul_f32 v[36:37], v[16:17], v[4:5] op_sel:[0,1]
	v_pk_mul_f32 v[38:39], v[14:15], v[6:7] op_sel:[0,1]
	;; [unrolled: 1-line block ×3, first 2 shown]
	v_pk_fma_f32 v[42:43], v[14:15], v[2:3], v[34:35] op_sel:[0,0,1] op_sel_hi:[1,1,0] neg_lo:[0,0,1] neg_hi:[0,0,1]
	v_pk_fma_f32 v[2:3], v[14:15], v[2:3], v[34:35] op_sel:[0,0,1] op_sel_hi:[1,0,0]
	v_pk_fma_f32 v[34:35], v[16:17], v[4:5], v[36:37] op_sel:[0,0,1] op_sel_hi:[1,1,0] neg_lo:[0,0,1] neg_hi:[0,0,1]
	v_pk_fma_f32 v[4:5], v[16:17], v[4:5], v[36:37] op_sel:[0,0,1] op_sel_hi:[1,0,0]
	;; [unrolled: 2-line block ×4, first 2 shown]
	v_mov_b32_e32 v37, v7
	v_mov_b32_e32 v15, v9
	;; [unrolled: 1-line block ×4, first 2 shown]
	v_pk_add_f32 v[6:7], v[30:31], v[36:37] neg_lo:[0,1] neg_hi:[0,1]
	v_pk_add_f32 v[8:9], v[32:33], v[14:15] neg_lo:[0,1] neg_hi:[0,1]
	;; [unrolled: 1-line block ×4, first 2 shown]
	v_pk_fma_f32 v[14:15], v[30:31], 2.0, v[6:7] op_sel_hi:[1,0,1] neg_lo:[0,0,1] neg_hi:[0,0,1]
	v_pk_fma_f32 v[16:17], v[32:33], 2.0, v[8:9] op_sel_hi:[1,0,1] neg_lo:[0,0,1] neg_hi:[0,0,1]
	;; [unrolled: 1-line block ×4, first 2 shown]
	ds_write2_b64 v48, v[2:3], v[4:5] offset0:32 offset1:240
	ds_write2_b64 v1, v[6:7], v[8:9] offset0:32 offset1:240
	ds_write2_b64 v104, v[10:11], v[12:13] offset1:208
	ds_write2_b64 v0, v[14:15], v[16:17] offset1:208
	s_waitcnt lgkmcnt(0)
	s_barrier
	global_load_dwordx2 v[14:15], v[18:19], off offset:2456
	global_load_dwordx2 v[16:17], v[20:21], off offset:24
	;; [unrolled: 1-line block ×4, first 2 shown]
	ds_read2_b64 v[2:5], v0 offset1:208
	ds_read2_b64 v[6:9], v1 offset0:32 offset1:240
	ds_read2_b64 v[10:13], v104 offset1:208
	ds_read_b64 v[18:19], v105
	ds_read_b64 v[20:21], v106
	s_waitcnt lgkmcnt(0)
	s_barrier
	s_waitcnt vmcnt(3)
	v_pk_mul_f32 v[22:23], v[14:15], v[2:3] op_sel:[0,1]
	s_waitcnt vmcnt(2)
	v_pk_mul_f32 v[28:29], v[16:17], v[4:5] op_sel:[0,1]
	s_waitcnt vmcnt(1)
	v_pk_mul_f32 v[34:35], v[30:31], v[6:7] op_sel:[0,1]
	s_waitcnt vmcnt(0)
	v_pk_mul_f32 v[36:37], v[32:33], v[8:9] op_sel:[0,1]
	v_pk_fma_f32 v[38:39], v[14:15], v[2:3], v[22:23] op_sel:[0,0,1] op_sel_hi:[1,1,0] neg_lo:[0,0,1] neg_hi:[0,0,1]
	v_pk_fma_f32 v[2:3], v[14:15], v[2:3], v[22:23] op_sel:[0,0,1] op_sel_hi:[1,0,0]
	v_pk_fma_f32 v[14:15], v[16:17], v[4:5], v[28:29] op_sel:[0,0,1] op_sel_hi:[1,1,0] neg_lo:[0,0,1] neg_hi:[0,0,1]
	v_pk_fma_f32 v[4:5], v[16:17], v[4:5], v[28:29] op_sel:[0,0,1] op_sel_hi:[1,0,0]
	;; [unrolled: 2-line block ×4, first 2 shown]
	v_mov_b32_e32 v39, v3
	v_mov_b32_e32 v15, v5
	;; [unrolled: 1-line block ×4, first 2 shown]
	v_pk_add_f32 v[2:3], v[10:11], v[38:39] neg_lo:[0,1] neg_hi:[0,1]
	v_pk_add_f32 v[4:5], v[12:13], v[14:15] neg_lo:[0,1] neg_hi:[0,1]
	;; [unrolled: 1-line block ×4, first 2 shown]
	v_pk_fma_f32 v[10:11], v[10:11], 2.0, v[2:3] op_sel_hi:[1,0,1] neg_lo:[0,0,1] neg_hi:[0,0,1]
	v_pk_fma_f32 v[12:13], v[12:13], 2.0, v[4:5] op_sel_hi:[1,0,1] neg_lo:[0,0,1] neg_hi:[0,0,1]
	;; [unrolled: 1-line block ×4, first 2 shown]
	ds_write2_b64 v0, v[2:3], v[4:5] offset1:208
	ds_write2_b64 v104, v[10:11], v[12:13] offset1:208
	ds_write2st64_b64 v105, v[14:15], v[6:7] offset1:13
	ds_write2st64_b64 v106, v[16:17], v[8:9] offset1:13
	s_waitcnt lgkmcnt(0)
	s_barrier
	s_and_saveexec_b64 s[2:3], s[0:1]
	s_cbranch_execz .LBB0_21
; %bb.20:
	v_lshl_add_u32 v8, v26, 3, 0
	ds_read2_b64 v[0:3], v8 offset1:208
	v_mov_b32_e32 v27, 0
	v_add_u32_e32 v4, 0xd0, v26
	v_lshl_add_u64 v[6:7], v[26:27], 3, v[24:25]
	v_mov_b32_e32 v5, v27
	s_waitcnt lgkmcnt(0)
	global_store_dwordx2 v[6:7], v[0:1], off
	v_lshl_add_u64 v[0:1], v[4:5], 3, v[24:25]
	v_add_u32_e32 v4, 0xc00, v8
	ds_read2_b64 v[4:7], v4 offset0:32 offset1:240
	global_store_dwordx2 v[0:1], v[2:3], off
	v_add_u32_e32 v0, 0x1a0, v26
	v_mov_b32_e32 v1, v27
	v_lshl_add_u64 v[0:1], v[0:1], 3, v[24:25]
	s_waitcnt lgkmcnt(0)
	global_store_dwordx2 v[0:1], v[4:5], off
	v_add_u32_e32 v0, 0x270, v26
	v_mov_b32_e32 v1, v27
	v_lshl_add_u64 v[4:5], v[0:1], 3, v[24:25]
	v_add_u32_e32 v0, 0x1a00, v8
	ds_read2_b64 v[0:3], v0 offset1:208
	global_store_dwordx2 v[4:5], v[6:7], off
	v_add_u32_e32 v4, 0x340, v26
	v_mov_b32_e32 v5, v27
	v_lshl_add_u64 v[4:5], v[4:5], 3, v[24:25]
	s_waitcnt lgkmcnt(0)
	global_store_dwordx2 v[4:5], v[0:1], off
	v_add_u32_e32 v4, 0x2600, v8
	ds_read2_b64 v[4:7], v4 offset0:32 offset1:240
	v_add_u32_e32 v0, 0x410, v26
	v_mov_b32_e32 v1, v27
	v_lshl_add_u64 v[0:1], v[0:1], 3, v[24:25]
	global_store_dwordx2 v[0:1], v[2:3], off
	v_add_u32_e32 v0, 0x4e0, v26
	v_mov_b32_e32 v1, v27
	v_lshl_add_u64 v[0:1], v[0:1], 3, v[24:25]
	v_add_u32_e32 v26, 0x5b0, v26
	s_waitcnt lgkmcnt(0)
	global_store_dwordx2 v[0:1], v[4:5], off
	v_lshl_add_u64 v[0:1], v[26:27], 3, v[24:25]
	global_store_dwordx2 v[0:1], v[6:7], off
.LBB0_21:
	s_endpgm
	.section	.rodata,"a",@progbits
	.p2align	6, 0x0
	.amdhsa_kernel fft_rtc_fwd_len1664_factors_13_2_2_4_2_2_2_wgs_208_tpt_208_halfLds_sp_ip_CI_unitstride_sbrr_C2R_dirReg
		.amdhsa_group_segment_fixed_size 0
		.amdhsa_private_segment_fixed_size 0
		.amdhsa_kernarg_size 88
		.amdhsa_user_sgpr_count 2
		.amdhsa_user_sgpr_dispatch_ptr 0
		.amdhsa_user_sgpr_queue_ptr 0
		.amdhsa_user_sgpr_kernarg_segment_ptr 1
		.amdhsa_user_sgpr_dispatch_id 0
		.amdhsa_user_sgpr_kernarg_preload_length 0
		.amdhsa_user_sgpr_kernarg_preload_offset 0
		.amdhsa_user_sgpr_private_segment_size 0
		.amdhsa_uses_dynamic_stack 0
		.amdhsa_enable_private_segment 0
		.amdhsa_system_sgpr_workgroup_id_x 1
		.amdhsa_system_sgpr_workgroup_id_y 0
		.amdhsa_system_sgpr_workgroup_id_z 0
		.amdhsa_system_sgpr_workgroup_info 0
		.amdhsa_system_vgpr_workitem_id 0
		.amdhsa_next_free_vgpr 176
		.amdhsa_next_free_sgpr 48
		.amdhsa_accum_offset 176
		.amdhsa_reserve_vcc 1
		.amdhsa_float_round_mode_32 0
		.amdhsa_float_round_mode_16_64 0
		.amdhsa_float_denorm_mode_32 3
		.amdhsa_float_denorm_mode_16_64 3
		.amdhsa_dx10_clamp 1
		.amdhsa_ieee_mode 1
		.amdhsa_fp16_overflow 0
		.amdhsa_tg_split 0
		.amdhsa_exception_fp_ieee_invalid_op 0
		.amdhsa_exception_fp_denorm_src 0
		.amdhsa_exception_fp_ieee_div_zero 0
		.amdhsa_exception_fp_ieee_overflow 0
		.amdhsa_exception_fp_ieee_underflow 0
		.amdhsa_exception_fp_ieee_inexact 0
		.amdhsa_exception_int_div_zero 0
	.end_amdhsa_kernel
	.text
.Lfunc_end0:
	.size	fft_rtc_fwd_len1664_factors_13_2_2_4_2_2_2_wgs_208_tpt_208_halfLds_sp_ip_CI_unitstride_sbrr_C2R_dirReg, .Lfunc_end0-fft_rtc_fwd_len1664_factors_13_2_2_4_2_2_2_wgs_208_tpt_208_halfLds_sp_ip_CI_unitstride_sbrr_C2R_dirReg
                                        ; -- End function
	.section	.AMDGPU.csdata,"",@progbits
; Kernel info:
; codeLenInByte = 7904
; NumSgprs: 54
; NumVgprs: 176
; NumAgprs: 0
; TotalNumVgprs: 176
; ScratchSize: 0
; MemoryBound: 0
; FloatMode: 240
; IeeeMode: 1
; LDSByteSize: 0 bytes/workgroup (compile time only)
; SGPRBlocks: 6
; VGPRBlocks: 21
; NumSGPRsForWavesPerEU: 54
; NumVGPRsForWavesPerEU: 176
; AccumOffset: 176
; Occupancy: 2
; WaveLimiterHint : 1
; COMPUTE_PGM_RSRC2:SCRATCH_EN: 0
; COMPUTE_PGM_RSRC2:USER_SGPR: 2
; COMPUTE_PGM_RSRC2:TRAP_HANDLER: 0
; COMPUTE_PGM_RSRC2:TGID_X_EN: 1
; COMPUTE_PGM_RSRC2:TGID_Y_EN: 0
; COMPUTE_PGM_RSRC2:TGID_Z_EN: 0
; COMPUTE_PGM_RSRC2:TIDIG_COMP_CNT: 0
; COMPUTE_PGM_RSRC3_GFX90A:ACCUM_OFFSET: 43
; COMPUTE_PGM_RSRC3_GFX90A:TG_SPLIT: 0
	.text
	.p2alignl 6, 3212836864
	.fill 256, 4, 3212836864
	.type	__hip_cuid_7156a8624269b2bf,@object ; @__hip_cuid_7156a8624269b2bf
	.section	.bss,"aw",@nobits
	.globl	__hip_cuid_7156a8624269b2bf
__hip_cuid_7156a8624269b2bf:
	.byte	0                               ; 0x0
	.size	__hip_cuid_7156a8624269b2bf, 1

	.ident	"AMD clang version 19.0.0git (https://github.com/RadeonOpenCompute/llvm-project roc-6.4.0 25133 c7fe45cf4b819c5991fe208aaa96edf142730f1d)"
	.section	".note.GNU-stack","",@progbits
	.addrsig
	.addrsig_sym __hip_cuid_7156a8624269b2bf
	.amdgpu_metadata
---
amdhsa.kernels:
  - .agpr_count:     0
    .args:
      - .actual_access:  read_only
        .address_space:  global
        .offset:         0
        .size:           8
        .value_kind:     global_buffer
      - .offset:         8
        .size:           8
        .value_kind:     by_value
      - .actual_access:  read_only
        .address_space:  global
        .offset:         16
        .size:           8
        .value_kind:     global_buffer
      - .actual_access:  read_only
        .address_space:  global
        .offset:         24
        .size:           8
        .value_kind:     global_buffer
      - .offset:         32
        .size:           8
        .value_kind:     by_value
      - .actual_access:  read_only
        .address_space:  global
        .offset:         40
        .size:           8
        .value_kind:     global_buffer
      - .actual_access:  read_only
        .address_space:  global
        .offset:         48
        .size:           8
        .value_kind:     global_buffer
      - .offset:         56
        .size:           4
        .value_kind:     by_value
      - .actual_access:  read_only
        .address_space:  global
        .offset:         64
        .size:           8
        .value_kind:     global_buffer
      - .actual_access:  read_only
        .address_space:  global
        .offset:         72
        .size:           8
        .value_kind:     global_buffer
      - .address_space:  global
        .offset:         80
        .size:           8
        .value_kind:     global_buffer
    .group_segment_fixed_size: 0
    .kernarg_segment_align: 8
    .kernarg_segment_size: 88
    .language:       OpenCL C
    .language_version:
      - 2
      - 0
    .max_flat_workgroup_size: 208
    .name:           fft_rtc_fwd_len1664_factors_13_2_2_4_2_2_2_wgs_208_tpt_208_halfLds_sp_ip_CI_unitstride_sbrr_C2R_dirReg
    .private_segment_fixed_size: 0
    .sgpr_count:     54
    .sgpr_spill_count: 0
    .symbol:         fft_rtc_fwd_len1664_factors_13_2_2_4_2_2_2_wgs_208_tpt_208_halfLds_sp_ip_CI_unitstride_sbrr_C2R_dirReg.kd
    .uniform_work_group_size: 1
    .uses_dynamic_stack: false
    .vgpr_count:     176
    .vgpr_spill_count: 0
    .wavefront_size: 64
amdhsa.target:   amdgcn-amd-amdhsa--gfx950
amdhsa.version:
  - 1
  - 2
...

	.end_amdgpu_metadata
